;; amdgpu-corpus repo=ROCm/rocFFT kind=compiled arch=gfx906 opt=O3
	.text
	.amdgcn_target "amdgcn-amd-amdhsa--gfx906"
	.amdhsa_code_object_version 6
	.protected	fft_rtc_back_len280_factors_8_5_7_wgs_392_tpt_56_half_ip_CI_sbcc_twdbase8_3step ; -- Begin function fft_rtc_back_len280_factors_8_5_7_wgs_392_tpt_56_half_ip_CI_sbcc_twdbase8_3step
	.globl	fft_rtc_back_len280_factors_8_5_7_wgs_392_tpt_56_half_ip_CI_sbcc_twdbase8_3step
	.p2align	8
	.type	fft_rtc_back_len280_factors_8_5_7_wgs_392_tpt_56_half_ip_CI_sbcc_twdbase8_3step,@function
fft_rtc_back_len280_factors_8_5_7_wgs_392_tpt_56_half_ip_CI_sbcc_twdbase8_3step: ; @fft_rtc_back_len280_factors_8_5_7_wgs_392_tpt_56_half_ip_CI_sbcc_twdbase8_3step
; %bb.0:
	s_load_dwordx4 s[0:3], s[4:5], 0x18
	s_mov_b32 s7, 0
	s_mov_b64 s[24:25], 0
	s_waitcnt lgkmcnt(0)
	s_load_dwordx2 s[20:21], s[0:1], 0x8
	s_waitcnt lgkmcnt(0)
	s_add_u32 s8, s20, -1
	s_addc_u32 s9, s21, -1
	s_add_u32 s10, 0, 0x92481000
	s_addc_u32 s11, 0, 0x64
	s_mul_hi_u32 s13, s10, -7
	s_add_i32 s11, s11, 0x249248c0
	s_sub_i32 s13, s13, s10
	s_mul_i32 s16, s11, -7
	s_mul_i32 s12, s10, -7
	s_add_i32 s13, s13, s16
	s_mul_hi_u32 s14, s11, s12
	s_mul_i32 s15, s11, s12
	s_mul_i32 s17, s10, s13
	s_mul_hi_u32 s12, s10, s12
	s_mul_hi_u32 s16, s10, s13
	s_add_u32 s12, s12, s17
	s_addc_u32 s16, 0, s16
	s_add_u32 s12, s12, s15
	s_mul_hi_u32 s17, s11, s13
	s_addc_u32 s12, s16, s14
	s_addc_u32 s14, s17, 0
	s_mul_i32 s13, s11, s13
	s_add_u32 s12, s12, s13
	v_mov_b32_e32 v1, s12
	s_addc_u32 s13, 0, s14
	v_add_co_u32_e32 v1, vcc, s10, v1
	s_cmp_lg_u64 vcc, 0
	s_addc_u32 s10, s11, s13
	v_readfirstlane_b32 s13, v1
	s_mul_i32 s12, s8, s10
	s_mul_hi_u32 s14, s8, s13
	s_mul_hi_u32 s11, s8, s10
	s_add_u32 s12, s14, s12
	s_addc_u32 s11, 0, s11
	s_mul_hi_u32 s15, s9, s13
	s_mul_i32 s13, s9, s13
	s_add_u32 s12, s12, s13
	s_mul_hi_u32 s14, s9, s10
	s_addc_u32 s11, s11, s15
	s_addc_u32 s12, s14, 0
	s_mul_i32 s10, s9, s10
	s_add_u32 s10, s11, s10
	s_addc_u32 s11, 0, s12
	s_add_u32 s12, s10, 1
	s_addc_u32 s13, s11, 0
	s_add_u32 s14, s10, 2
	s_mul_i32 s16, s11, 7
	s_mul_hi_u32 s17, s10, 7
	s_addc_u32 s15, s11, 0
	s_add_i32 s17, s17, s16
	s_mul_i32 s16, s10, 7
	v_mov_b32_e32 v1, s16
	v_sub_co_u32_e32 v1, vcc, s8, v1
	s_cmp_lg_u64 vcc, 0
	s_subb_u32 s8, s9, s17
	v_subrev_co_u32_e32 v2, vcc, 7, v1
	s_cmp_lg_u64 vcc, 0
	s_subb_u32 s9, s8, 0
	v_readfirstlane_b32 s16, v2
	s_cmp_gt_u32 s16, 6
	s_cselect_b32 s16, -1, 0
	s_cmp_eq_u32 s9, 0
	s_cselect_b32 s9, s16, -1
	s_cmp_lg_u32 s9, 0
	s_cselect_b32 s9, s14, s12
	s_cselect_b32 s12, s15, s13
	v_readfirstlane_b32 s13, v1
	s_cmp_gt_u32 s13, 6
	s_cselect_b32 s13, -1, 0
	s_cmp_eq_u32 s8, 0
	s_cselect_b32 s8, s13, -1
	s_cmp_lg_u32 s8, 0
	s_cselect_b32 s9, s9, s10
	s_cselect_b32 s8, s12, s11
	s_add_u32 s22, s9, 1
	s_addc_u32 s23, s8, 0
	v_mov_b32_e32 v1, s22
	v_mov_b32_e32 v2, s23
	v_cmp_lt_u64_e32 vcc, s[6:7], v[1:2]
	s_cbranch_vccnz .LBB0_2
; %bb.1:
	v_cvt_f32_u32_e32 v1, s22
	s_sub_i32 s8, 0, s22
	s_mov_b32 s25, s7
	v_rcp_iflag_f32_e32 v1, v1
	v_mul_f32_e32 v1, 0x4f7ffffe, v1
	v_cvt_u32_f32_e32 v1, v1
	v_readfirstlane_b32 s9, v1
	s_mul_i32 s8, s8, s9
	s_mul_hi_u32 s8, s9, s8
	s_add_i32 s9, s9, s8
	s_mul_hi_u32 s8, s6, s9
	s_mul_i32 s10, s8, s22
	s_sub_i32 s10, s6, s10
	s_add_i32 s9, s8, 1
	s_sub_i32 s11, s10, s22
	s_cmp_ge_u32 s10, s22
	s_cselect_b32 s8, s9, s8
	s_cselect_b32 s10, s11, s10
	s_add_i32 s9, s8, 1
	s_cmp_ge_u32 s10, s22
	s_cselect_b32 s24, s9, s8
.LBB0_2:
	s_load_dwordx2 s[16:17], s[4:5], 0x58
	s_load_dwordx4 s[8:11], s[2:3], 0x0
	s_load_dwordx2 s[18:19], s[4:5], 0x0
	s_load_dwordx4 s[12:15], s[4:5], 0x8
	s_mul_i32 s4, s24, s23
	s_mul_hi_u32 s5, s24, s22
	s_add_i32 s5, s5, s4
	s_mul_i32 s4, s24, s22
	s_sub_u32 s38, s6, s4
	s_subb_u32 s4, 0, s5
	s_mul_i32 s4, s4, 7
	s_mul_hi_u32 s33, s38, 7
	s_add_i32 s33, s33, s4
	s_mul_i32 s38, s38, 7
	s_waitcnt lgkmcnt(0)
	s_mul_i32 s4, s10, s33
	s_mul_hi_u32 s5, s10, s38
	s_add_i32 s4, s5, s4
	s_mul_i32 s5, s11, s38
	s_add_i32 s39, s4, s5
	v_cmp_lt_u64_e64 s[4:5], s[14:15], 3
	s_mul_i32 s40, s10, s38
	s_and_b64 vcc, exec, s[4:5]
	s_cbranch_vccnz .LBB0_12
; %bb.3:
	s_add_u32 s4, s2, 16
	s_addc_u32 s5, s3, 0
	s_add_u32 s26, s0, 16
	v_mov_b32_e32 v1, s14
	s_addc_u32 s27, s1, 0
	s_mov_b64 s[28:29], 2
	s_mov_b32 s30, 0
	v_mov_b32_e32 v2, s15
.LBB0_4:                                ; =>This Inner Loop Header: Depth=1
	s_load_dwordx2 s[34:35], s[26:27], 0x0
	s_waitcnt lgkmcnt(0)
	s_or_b64 s[0:1], s[24:25], s[34:35]
	s_mov_b32 s31, s1
	s_cmp_lg_u64 s[30:31], 0
	s_cbranch_scc0 .LBB0_9
; %bb.5:                                ;   in Loop: Header=BB0_4 Depth=1
	v_cvt_f32_u32_e32 v3, s34
	v_cvt_f32_u32_e32 v4, s35
	s_sub_u32 s0, 0, s34
	s_subb_u32 s1, 0, s35
	v_mac_f32_e32 v3, 0x4f800000, v4
	v_rcp_f32_e32 v3, v3
	v_mul_f32_e32 v3, 0x5f7ffffc, v3
	v_mul_f32_e32 v4, 0x2f800000, v3
	v_trunc_f32_e32 v4, v4
	v_mac_f32_e32 v3, 0xcf800000, v4
	v_cvt_u32_f32_e32 v4, v4
	v_cvt_u32_f32_e32 v3, v3
	v_readfirstlane_b32 s31, v4
	v_readfirstlane_b32 s36, v3
	s_mul_i32 s37, s0, s31
	s_mul_hi_u32 s42, s0, s36
	s_mul_i32 s41, s1, s36
	s_add_i32 s37, s42, s37
	s_mul_i32 s43, s0, s36
	s_add_i32 s37, s37, s41
	s_mul_hi_u32 s41, s36, s37
	s_mul_i32 s42, s36, s37
	s_mul_hi_u32 s36, s36, s43
	s_add_u32 s36, s36, s42
	s_addc_u32 s41, 0, s41
	s_mul_hi_u32 s44, s31, s43
	s_mul_i32 s43, s31, s43
	s_add_u32 s36, s36, s43
	s_mul_hi_u32 s42, s31, s37
	s_addc_u32 s36, s41, s44
	s_addc_u32 s41, s42, 0
	s_mul_i32 s37, s31, s37
	s_add_u32 s36, s36, s37
	s_addc_u32 s37, 0, s41
	v_add_co_u32_e32 v3, vcc, s36, v3
	s_cmp_lg_u64 vcc, 0
	s_addc_u32 s31, s31, s37
	v_readfirstlane_b32 s37, v3
	s_mul_i32 s36, s0, s31
	s_mul_hi_u32 s41, s0, s37
	s_add_i32 s36, s41, s36
	s_mul_i32 s1, s1, s37
	s_add_i32 s36, s36, s1
	s_mul_i32 s0, s0, s37
	s_mul_hi_u32 s41, s31, s0
	s_mul_i32 s42, s31, s0
	s_mul_i32 s44, s37, s36
	s_mul_hi_u32 s0, s37, s0
	s_mul_hi_u32 s43, s37, s36
	s_add_u32 s0, s0, s44
	s_addc_u32 s37, 0, s43
	s_add_u32 s0, s0, s42
	s_mul_hi_u32 s1, s31, s36
	s_addc_u32 s0, s37, s41
	s_addc_u32 s1, s1, 0
	s_mul_i32 s36, s31, s36
	s_add_u32 s0, s0, s36
	s_addc_u32 s1, 0, s1
	v_add_co_u32_e32 v3, vcc, s0, v3
	s_cmp_lg_u64 vcc, 0
	s_addc_u32 s0, s31, s1
	v_readfirstlane_b32 s36, v3
	s_mul_i32 s31, s24, s0
	s_mul_hi_u32 s37, s24, s36
	s_mul_hi_u32 s1, s24, s0
	s_add_u32 s31, s37, s31
	s_addc_u32 s1, 0, s1
	s_mul_hi_u32 s41, s25, s36
	s_mul_i32 s36, s25, s36
	s_add_u32 s31, s31, s36
	s_mul_hi_u32 s37, s25, s0
	s_addc_u32 s1, s1, s41
	s_addc_u32 s31, s37, 0
	s_mul_i32 s0, s25, s0
	s_add_u32 s36, s1, s0
	s_addc_u32 s31, 0, s31
	s_mul_i32 s0, s34, s31
	s_mul_hi_u32 s1, s34, s36
	s_add_i32 s0, s1, s0
	s_mul_i32 s1, s35, s36
	s_add_i32 s37, s0, s1
	s_mul_i32 s1, s34, s36
	v_mov_b32_e32 v3, s1
	s_sub_i32 s0, s25, s37
	v_sub_co_u32_e32 v3, vcc, s24, v3
	s_cmp_lg_u64 vcc, 0
	s_subb_u32 s41, s0, s35
	v_subrev_co_u32_e64 v4, s[0:1], s34, v3
	s_cmp_lg_u64 s[0:1], 0
	s_subb_u32 s0, s41, 0
	s_cmp_ge_u32 s0, s35
	v_readfirstlane_b32 s41, v4
	s_cselect_b32 s1, -1, 0
	s_cmp_ge_u32 s41, s34
	s_cselect_b32 s41, -1, 0
	s_cmp_eq_u32 s0, s35
	s_cselect_b32 s0, s41, s1
	s_add_u32 s1, s36, 1
	s_addc_u32 s41, s31, 0
	s_add_u32 s42, s36, 2
	s_addc_u32 s43, s31, 0
	s_cmp_lg_u32 s0, 0
	s_cselect_b32 s0, s42, s1
	s_cselect_b32 s1, s43, s41
	s_cmp_lg_u64 vcc, 0
	s_subb_u32 s37, s25, s37
	s_cmp_ge_u32 s37, s35
	v_readfirstlane_b32 s42, v3
	s_cselect_b32 s41, -1, 0
	s_cmp_ge_u32 s42, s34
	s_cselect_b32 s42, -1, 0
	s_cmp_eq_u32 s37, s35
	s_cselect_b32 s37, s42, s41
	s_cmp_lg_u32 s37, 0
	s_cselect_b32 s1, s1, s31
	s_cselect_b32 s0, s0, s36
	s_cbranch_execnz .LBB0_7
.LBB0_6:                                ;   in Loop: Header=BB0_4 Depth=1
	v_cvt_f32_u32_e32 v3, s34
	s_sub_i32 s0, 0, s34
	v_rcp_iflag_f32_e32 v3, v3
	v_mul_f32_e32 v3, 0x4f7ffffe, v3
	v_cvt_u32_f32_e32 v3, v3
	v_readfirstlane_b32 s1, v3
	s_mul_i32 s0, s0, s1
	s_mul_hi_u32 s0, s1, s0
	s_add_i32 s1, s1, s0
	s_mul_hi_u32 s0, s24, s1
	s_mul_i32 s31, s0, s34
	s_sub_i32 s31, s24, s31
	s_add_i32 s1, s0, 1
	s_sub_i32 s36, s31, s34
	s_cmp_ge_u32 s31, s34
	s_cselect_b32 s0, s1, s0
	s_cselect_b32 s31, s36, s31
	s_add_i32 s1, s0, 1
	s_cmp_ge_u32 s31, s34
	s_cselect_b32 s0, s1, s0
	s_mov_b32 s1, s30
.LBB0_7:                                ;   in Loop: Header=BB0_4 Depth=1
	s_mul_i32 s23, s34, s23
	s_mul_hi_u32 s31, s34, s22
	s_add_i32 s23, s31, s23
	s_mul_i32 s31, s35, s22
	s_add_i32 s23, s23, s31
	s_mul_i32 s31, s0, s35
	s_mul_hi_u32 s35, s0, s34
	s_load_dwordx2 s[36:37], s[4:5], 0x0
	s_add_i32 s31, s35, s31
	s_mul_i32 s35, s1, s34
	s_mul_i32 s22, s34, s22
	s_add_i32 s31, s31, s35
	s_mul_i32 s34, s0, s34
	s_sub_u32 s24, s24, s34
	s_subb_u32 s25, s25, s31
	s_waitcnt lgkmcnt(0)
	s_mul_i32 s25, s36, s25
	s_mul_hi_u32 s31, s36, s24
	s_add_i32 s25, s31, s25
	s_mul_i32 s31, s37, s24
	s_add_i32 s25, s25, s31
	s_mul_i32 s24, s36, s24
	s_add_u32 s40, s24, s40
	s_addc_u32 s39, s25, s39
	s_add_u32 s28, s28, 1
	s_addc_u32 s29, s29, 0
	;; [unrolled: 2-line block ×3, first 2 shown]
	v_cmp_ge_u64_e32 vcc, s[28:29], v[1:2]
	s_add_u32 s26, s26, 8
	s_addc_u32 s27, s27, 0
	s_cbranch_vccnz .LBB0_10
; %bb.8:                                ;   in Loop: Header=BB0_4 Depth=1
	s_mov_b64 s[24:25], s[0:1]
	s_branch .LBB0_4
.LBB0_9:                                ;   in Loop: Header=BB0_4 Depth=1
                                        ; implicit-def: $sgpr0_sgpr1
	s_branch .LBB0_6
.LBB0_10:
	v_mov_b32_e32 v1, s22
	v_mov_b32_e32 v2, s23
	v_cmp_lt_u64_e32 vcc, s[6:7], v[1:2]
	s_mov_b64 s[24:25], 0
	s_cbranch_vccnz .LBB0_12
; %bb.11:
	v_cvt_f32_u32_e32 v1, s22
	s_sub_i32 s0, 0, s22
	v_rcp_iflag_f32_e32 v1, v1
	v_mul_f32_e32 v1, 0x4f7ffffe, v1
	v_cvt_u32_f32_e32 v1, v1
	v_readfirstlane_b32 s1, v1
	s_mul_i32 s0, s0, s1
	s_mul_hi_u32 s0, s1, s0
	s_add_i32 s1, s1, s0
	s_mul_hi_u32 s0, s6, s1
	s_mul_i32 s4, s0, s22
	s_sub_i32 s4, s6, s4
	s_add_i32 s1, s0, 1
	s_sub_i32 s5, s4, s22
	s_cmp_ge_u32 s4, s22
	s_cselect_b32 s0, s1, s0
	s_cselect_b32 s4, s5, s4
	s_add_i32 s1, s0, 1
	s_cmp_ge_u32 s4, s22
	s_cselect_b32 s24, s1, s0
.LBB0_12:
	s_lshl_b64 s[0:1], s[14:15], 3
	s_add_u32 s0, s2, s0
	s_addc_u32 s1, s3, s1
	s_load_dwordx2 s[0:1], s[0:1], 0x0
	v_mov_b32_e32 v1, s20
	v_mul_u32_u24_e32 v3, 0x2493, v0
	v_mov_b32_e32 v2, s21
	v_lshrrev_b32_e32 v6, 16, v3
	s_waitcnt lgkmcnt(0)
	s_mul_i32 s1, s1, s24
	s_mul_hi_u32 s2, s0, s24
	s_mul_i32 s0, s0, s24
	s_add_i32 s1, s2, s1
	s_add_u32 s2, s0, s40
	s_addc_u32 s3, s1, s39
	s_add_u32 s0, s38, 7
	s_addc_u32 s1, s33, 0
	v_cmp_le_u64_e32 vcc, s[0:1], v[1:2]
	v_mul_lo_u16_e32 v1, 7, v6
	v_sub_u16_e32 v8, v0, v1
	v_mov_b32_e32 v2, s33
	v_add_co_u32_e64 v1, s[0:1], s38, v8
	v_addc_co_u32_e64 v2, s[0:1], 0, v2, s[0:1]
	v_cmp_gt_u64_e64 s[0:1], s[20:21], v[1:2]
	v_lshlrev_b32_e32 v9, 2, v6
	s_or_b64 s[0:1], vcc, s[0:1]
	v_add_u32_e32 v7, 56, v6
	s_and_saveexec_b64 s[4:5], s[0:1]
	s_cbranch_execz .LBB0_14
; %bb.13:
	v_mad_u64_u32 v[1:2], s[6:7], s10, v8, 0
	v_mad_u64_u32 v[3:4], s[6:7], s8, v6, 0
	v_add_u32_e32 v12, 0x70, v6
	v_add_u32_e32 v15, 0xa8, v6
	v_mad_u64_u32 v[10:11], s[6:7], s11, v8, v[2:3]
	v_mov_b32_e32 v2, v4
	v_mad_u64_u32 v[4:5], s[6:7], s9, v6, v[2:3]
	s_lshl_b64 s[6:7], s[2:3], 2
	s_add_u32 s14, s16, s6
	s_addc_u32 s6, s17, s7
	v_mov_b32_e32 v2, v10
	v_mov_b32_e32 v5, s6
	v_mad_u64_u32 v[10:11], s[6:7], s8, v7, 0
	v_lshlrev_b64 v[1:2], 2, v[1:2]
	v_add_u32_e32 v17, 0xe0, v6
	v_add_co_u32_e32 v18, vcc, s14, v1
	v_addc_co_u32_e32 v19, vcc, v5, v2, vcc
	v_lshlrev_b64 v[1:2], 2, v[3:4]
	v_mov_b32_e32 v3, v11
	v_mad_u64_u32 v[3:4], s[6:7], s9, v7, v[3:4]
	v_mad_u64_u32 v[4:5], s[6:7], s8, v12, 0
	v_mov_b32_e32 v11, v3
	v_add_co_u32_e32 v1, vcc, v18, v1
	v_mov_b32_e32 v3, v5
	v_mad_u64_u32 v[12:13], s[6:7], s9, v12, v[3:4]
	v_mad_u64_u32 v[13:14], s[6:7], s8, v15, 0
	v_mov_b32_e32 v5, v12
	v_lshlrev_b64 v[3:4], 2, v[4:5]
	v_mov_b32_e32 v5, v14
	v_mad_u64_u32 v[14:15], s[6:7], s9, v15, v[5:6]
	v_mad_u64_u32 v[15:16], s[6:7], s8, v17, 0
	v_lshlrev_b64 v[10:11], 2, v[10:11]
	v_addc_co_u32_e32 v2, vcc, v19, v2, vcc
	v_mov_b32_e32 v5, v16
	v_add_co_u32_e32 v10, vcc, v18, v10
	v_mad_u64_u32 v[16:17], s[6:7], s9, v17, v[5:6]
	v_addc_co_u32_e32 v11, vcc, v19, v11, vcc
	v_add_co_u32_e32 v3, vcc, v18, v3
	v_lshlrev_b64 v[12:13], 2, v[13:14]
	v_addc_co_u32_e32 v4, vcc, v19, v4, vcc
	v_add_co_u32_e32 v12, vcc, v18, v12
	v_lshlrev_b64 v[14:15], 2, v[15:16]
	v_addc_co_u32_e32 v13, vcc, v19, v13, vcc
	v_add_co_u32_e32 v14, vcc, v18, v14
	v_addc_co_u32_e32 v15, vcc, v19, v15, vcc
	global_load_dword v5, v[1:2], off
	global_load_dword v16, v[10:11], off
	;; [unrolled: 1-line block ×5, first 2 shown]
	v_mul_u32_u24_e32 v1, 0x460, v8
	v_add3_u32 v1, 0, v1, v9
	s_waitcnt vmcnt(3)
	ds_write2_b32 v1, v5, v16 offset1:56
	s_waitcnt vmcnt(1)
	ds_write2_b32 v1, v17, v18 offset0:112 offset1:168
	s_waitcnt vmcnt(0)
	ds_write_b32 v1, v19 offset:896
.LBB0_14:
	s_or_b64 exec, exec, s[4:5]
	s_movk_i32 s4, 0x493
	v_mul_u32_u24_sdwa v1, v0, s4 dst_sel:DWORD dst_unused:UNUSED_PAD src0_sel:WORD_0 src1_sel:DWORD
	s_add_u32 s4, 0, 0x92481000
	s_addc_u32 s5, 0, 0x64
	s_add_i32 s5, s5, 0x249248c0
	s_mul_hi_u32 s15, s4, -7
	s_sub_i32 s15, s15, s4
	s_mul_i32 s20, s5, -7
	s_mul_i32 s6, s4, -7
	s_add_i32 s15, s15, s20
	s_mul_hi_u32 s7, s5, s6
	s_mul_i32 s14, s5, s6
	s_mul_i32 s21, s4, s15
	s_mul_hi_u32 s6, s4, s6
	s_mul_hi_u32 s20, s4, s15
	s_add_u32 s6, s6, s21
	s_addc_u32 s20, 0, s20
	s_add_u32 s6, s6, s14
	s_mul_hi_u32 s21, s5, s15
	s_addc_u32 s6, s20, s7
	v_lshrrev_b32_e32 v5, 16, v1
	s_addc_u32 s7, s21, 0
	s_mul_i32 s14, s5, s15
	v_mov_b32_e32 v1, s33
	v_add_co_u32_e32 v19, vcc, s38, v5
	s_add_u32 s6, s6, s14
	v_addc_co_u32_e32 v10, vcc, 0, v1, vcc
	v_mov_b32_e32 v1, s6
	s_addc_u32 s7, 0, s7
	v_add_co_u32_e32 v3, vcc, s4, v1
	s_cmp_lg_u64 vcc, 0
	s_addc_u32 s6, s5, s7
	v_mad_u64_u32 v[1:2], s[4:5], v19, s6, 0
	v_mul_hi_u32 v4, v19, v3
	s_waitcnt lgkmcnt(0)
	s_barrier
	v_add_co_u32_e32 v11, vcc, v4, v1
	v_addc_co_u32_e32 v12, vcc, 0, v2, vcc
	v_mad_u64_u32 v[1:2], s[4:5], v10, v3, 0
	v_mad_u64_u32 v[3:4], s[4:5], v10, s6, 0
	v_add_co_u32_e32 v1, vcc, v11, v1
	v_addc_co_u32_e32 v1, vcc, v12, v2, vcc
	v_addc_co_u32_e32 v2, vcc, 0, v4, vcc
	v_add_co_u32_e32 v1, vcc, v1, v3
	v_addc_co_u32_e32 v3, vcc, 0, v2, vcc
	v_mad_u64_u32 v[1:2], s[4:5], v1, 7, 0
	s_mov_b32 s6, 0xb9a8
	s_movk_i32 s7, 0x39a8
	v_mad_u64_u32 v[2:3], s[4:5], v3, 7, v[2:3]
	v_sub_co_u32_e32 v1, vcc, v19, v1
	v_subb_co_u32_e32 v2, vcc, v10, v2, vcc
	v_subrev_co_u32_e32 v3, vcc, 7, v1
	v_subbrev_co_u32_e32 v4, vcc, 0, v2, vcc
	v_cmp_lt_u32_e32 vcc, 6, v3
	v_cndmask_b32_e64 v10, 0, -1, vcc
	v_cmp_eq_u32_e32 vcc, 0, v4
	v_cndmask_b32_e32 v4, -1, v10, vcc
	v_add_u32_e32 v10, -7, v3
	v_cmp_ne_u32_e32 vcc, 0, v4
	v_cndmask_b32_e32 v3, v3, v10, vcc
	v_cmp_lt_u32_e32 vcc, 6, v1
	v_cndmask_b32_e64 v4, 0, -1, vcc
	v_cmp_eq_u32_e32 vcc, 0, v2
	v_cndmask_b32_e32 v2, -1, v4, vcc
	v_cmp_ne_u32_e32 vcc, 0, v2
	v_mul_lo_u16_e32 v2, 56, v5
	v_cndmask_b32_e32 v1, v1, v3, vcc
	v_sub_u16_e32 v13, v0, v2
	v_mul_u32_u24_e32 v1, 0x118, v1
	v_lshlrev_b32_e32 v0, 2, v13
	v_lshlrev_b32_e32 v14, 2, v1
	v_add_u32_e32 v2, 0, v0
	v_add_u32_e32 v10, v2, v14
	v_add3_u32 v11, 0, v14, v0
	ds_read2_b32 v[0:1], v10 offset0:105 offset1:140
	ds_read_b32 v5, v11
	ds_read2_b32 v[3:4], v10 offset0:35 offset1:70
	ds_read2_b32 v[15:16], v10 offset0:175 offset1:210
	ds_read_b32 v12, v10 offset:980
	v_cmp_gt_u16_e32 vcc, 35, v13
	s_waitcnt lgkmcnt(3)
	v_pk_add_f16 v1, v5, v1 neg_lo:[0,1] neg_hi:[0,1]
	v_lshrrev_b32_e32 v18, 16, v1
	s_waitcnt lgkmcnt(1)
	v_pk_add_f16 v17, v4, v16 neg_lo:[0,1] neg_hi:[0,1]
	v_pk_add_f16 v15, v3, v15 neg_lo:[0,1] neg_hi:[0,1]
	s_waitcnt lgkmcnt(0)
	v_pk_add_f16 v12, v0, v12 neg_lo:[0,1] neg_hi:[0,1]
	v_pk_fma_f16 v5, v5, 2.0, v1 op_sel_hi:[1,0,1] neg_lo:[0,0,1] neg_hi:[0,0,1]
	v_pk_fma_f16 v4, v4, 2.0, v17 op_sel_hi:[1,0,1] neg_lo:[0,0,1] neg_hi:[0,0,1]
	;; [unrolled: 1-line block ×4, first 2 shown]
	v_sub_f16_e32 v20, v18, v17
	v_pk_add_f16 v3, v5, v4 neg_lo:[0,1] neg_hi:[0,1]
	v_alignbit_b32 v4, s0, v17, 16
	v_fma_f16 v17, v18, 2.0, -v20
	v_pk_add_f16 v18, v16, v0 neg_lo:[0,1] neg_hi:[0,1]
	v_lshrrev_b32_e32 v0, 16, v15
	v_pk_add_f16 v4, v1, v4
	v_add_f16_sdwa v22, v15, v12 dst_sel:DWORD dst_unused:UNUSED_PAD src0_sel:DWORD src1_sel:WORD_1
	v_sub_f16_e32 v23, v0, v12
	v_fma_f16 v21, v1, 2.0, -v4
	v_fma_f16 v1, v15, 2.0, -v22
	;; [unrolled: 1-line block ×3, first 2 shown]
	v_fma_f16 v12, v1, s6, v21
	v_fma_f16 v15, v0, s6, v17
	;; [unrolled: 1-line block ×4, first 2 shown]
	v_pk_add_f16 v1, v3, v18 op_sel:[0,1] op_sel_hi:[1,0]
	v_pk_add_f16 v15, v3, v18 op_sel:[0,1] op_sel_hi:[1,0] neg_lo:[0,1] neg_hi:[0,1]
	s_barrier
	s_and_saveexec_b64 s[4:5], vcc
	s_cbranch_execz .LBB0_16
; %bb.15:
	v_fma_f16 v24, v22, s7, v4
	v_fma_f16 v24, v23, s7, v24
	;; [unrolled: 1-line block ×4, first 2 shown]
	v_mul_u32_u24_e32 v23, 28, v13
	v_add3_u32 v23, v2, v23, v14
	v_pk_fma_f16 v2, v5, 2.0, v3 op_sel_hi:[1,0,1] neg_lo:[0,0,1] neg_hi:[0,0,1]
	v_pk_fma_f16 v5, v16, 2.0, v18 op_sel_hi:[1,0,1] neg_lo:[0,0,1] neg_hi:[0,0,1]
	v_pk_add_f16 v18, v2, v5 neg_lo:[0,1] neg_hi:[0,1]
	v_pk_fma_f16 v2, v2, 2.0, v18 op_sel_hi:[1,0,1] neg_lo:[0,0,1] neg_hi:[0,0,1]
	s_mov_b32 s6, 0x5040100
	v_fma_f16 v20, v20, 2.0, -v22
	v_fma_f16 v21, v21, 2.0, -v0
	ds_write_b32 v23, v2
	ds_write_b16 v23, v21 offset:4
	v_perm_b32 v2, v3, v17, s6
	v_perm_b32 v16, v1, v12, s6
	v_alignbit_b32 v3, v4, v3, 16
	v_alignbit_b32 v17, v24, v15, 16
	v_pk_fma_f16 v2, v2, 2.0, v16 op_sel_hi:[1,0,1] neg_lo:[0,0,1] neg_hi:[0,0,1]
	v_pk_fma_f16 v3, v3, 2.0, v17 op_sel_hi:[1,0,1] neg_lo:[0,0,1] neg_hi:[0,0,1]
	v_alignbit_b32 v5, v0, v18, 16
	v_pack_b32_f16 v4, v20, v18
	ds_write_b128 v23, v[2:5] offset:6
	ds_write_b64 v23, v[16:17] offset:22
	ds_write_b16 v23, v22 offset:30
.LBB0_16:
	s_or_b64 exec, exec, s[4:5]
	v_and_b32_e32 v18, 7, v13
	v_lshlrev_b32_e32 v2, 4, v18
	s_waitcnt lgkmcnt(0)
	s_barrier
	global_load_dwordx4 v[2:5], v2, s[18:19]
	ds_read_b32 v22, v11
	ds_read_u16 v23, v11 offset:2
	ds_read2_b32 v[16:17], v10 offset0:56 offset1:112
	ds_read2_b32 v[20:21], v10 offset0:168 offset1:224
	s_mov_b32 s4, 0xbb9c
	s_movk_i32 s7, 0x3b9c
	s_mov_b32 s5, 0xb8b4
	s_waitcnt lgkmcnt(1)
	v_lshrrev_b32_e32 v24, 16, v16
	v_lshrrev_b32_e32 v25, 16, v17
	s_waitcnt lgkmcnt(0)
	v_lshrrev_b32_e32 v26, 16, v20
	v_lshrrev_b32_e32 v27, 16, v21
	s_movk_i32 s14, 0x38b4
	s_movk_i32 s6, 0x34f2
	s_waitcnt vmcnt(0)
	s_barrier
	v_cmp_gt_u16_e32 vcc, 40, v13
	v_mul_f16_sdwa v28, v2, v24 dst_sel:DWORD dst_unused:UNUSED_PAD src0_sel:WORD_1 src1_sel:DWORD
	v_mul_f16_sdwa v29, v2, v16 dst_sel:DWORD dst_unused:UNUSED_PAD src0_sel:WORD_1 src1_sel:DWORD
	v_mul_f16_sdwa v30, v3, v25 dst_sel:DWORD dst_unused:UNUSED_PAD src0_sel:WORD_1 src1_sel:DWORD
	v_mul_f16_sdwa v31, v3, v17 dst_sel:DWORD dst_unused:UNUSED_PAD src0_sel:WORD_1 src1_sel:DWORD
	v_mul_f16_sdwa v32, v4, v26 dst_sel:DWORD dst_unused:UNUSED_PAD src0_sel:WORD_1 src1_sel:DWORD
	v_mul_f16_sdwa v33, v4, v20 dst_sel:DWORD dst_unused:UNUSED_PAD src0_sel:WORD_1 src1_sel:DWORD
	v_mul_f16_sdwa v34, v5, v27 dst_sel:DWORD dst_unused:UNUSED_PAD src0_sel:WORD_1 src1_sel:DWORD
	v_mul_f16_sdwa v35, v5, v21 dst_sel:DWORD dst_unused:UNUSED_PAD src0_sel:WORD_1 src1_sel:DWORD
	v_fma_f16 v16, v2, v16, v28
	v_fma_f16 v17, v3, v17, v30
	v_fma_f16 v2, v2, v24, -v29
	v_fma_f16 v3, v3, v25, -v31
	v_fma_f16 v20, v4, v20, v32
	v_fma_f16 v4, v4, v26, -v33
	v_fma_f16 v21, v5, v21, v34
	v_fma_f16 v5, v5, v27, -v35
	v_add_f16_e32 v24, v16, v22
	v_add_f16_e32 v25, v17, v20
	v_sub_f16_e32 v26, v16, v17
	v_sub_f16_e32 v27, v21, v20
	v_add_f16_e32 v28, v16, v21
	v_sub_f16_e32 v29, v17, v16
	v_sub_f16_e32 v30, v20, v21
	v_add_f16_e32 v31, v3, v4
	v_add_f16_e32 v36, v2, v5
	v_sub_f16_e32 v32, v2, v3
	v_sub_f16_e32 v33, v5, v4
	;; [unrolled: 1-line block ×3, first 2 shown]
	v_add_f16_e32 v37, v23, v2
	v_sub_f16_e32 v2, v2, v5
	v_sub_f16_e32 v38, v3, v4
	;; [unrolled: 1-line block ×4, first 2 shown]
	v_add_f16_e32 v26, v26, v27
	v_fma_f16 v25, v25, -0.5, v22
	v_fma_f16 v22, v28, -0.5, v22
	v_add_f16_e32 v27, v29, v30
	v_fma_f16 v30, v31, -0.5, v23
	v_fma_f16 v23, v36, -0.5, v23
	v_add_f16_e32 v17, v24, v17
	v_sub_f16_e32 v35, v4, v5
	v_add_f16_e32 v28, v32, v33
	v_add_f16_e32 v3, v37, v3
	;; [unrolled: 1-line block ×3, first 2 shown]
	v_fma_f16 v20, v2, s4, v25
	v_fma_f16 v24, v2, s7, v25
	;; [unrolled: 1-line block ×7, first 2 shown]
	v_add_f16_e32 v29, v34, v35
	v_add_f16_e32 v3, v3, v4
	v_fma_f16 v4, v38, s7, v22
	v_add_f16_e32 v22, v17, v21
	v_fma_f16 v21, v2, s14, v25
	v_fma_f16 v25, v39, s5, v30
	;; [unrolled: 1-line block ×5, first 2 shown]
	v_lshrrev_b32_e32 v16, 3, v13
	v_mul_u32_u24_e32 v16, 40, v16
	v_fma_f16 v17, v38, s5, v20
	v_fma_f16 v20, v38, s14, v24
	;; [unrolled: 1-line block ×3, first 2 shown]
	v_or_b32_e32 v16, v16, v18
	v_fma_f16 v4, v2, s5, v4
	v_add_f16_e32 v23, v3, v5
	v_fma_f16 v2, v26, s6, v17
	v_fma_f16 v31, v28, s6, v24
	v_lshlrev_b32_e32 v16, 2, v16
	v_fma_f16 v3, v27, s6, v4
	v_fma_f16 v4, v27, s6, v21
	;; [unrolled: 1-line block ×4, first 2 shown]
	v_add3_u32 v14, 0, v16, v14
	v_pack_b32_f16 v16, v22, v23
	v_pack_b32_f16 v17, v2, v31
	v_fma_f16 v5, v26, s6, v20
	ds_write2_b32 v14, v16, v17 offset1:8
	v_pack_b32_f16 v16, v3, v28
	v_pack_b32_f16 v17, v4, v33
	ds_write2_b32 v14, v16, v17 offset0:16 offset1:24
	v_pack_b32_f16 v16, v5, v32
	v_lshrrev_b32_e32 v34, 16, v15
	ds_write_b32 v14, v16 offset:128
	s_waitcnt lgkmcnt(0)
	s_barrier
	s_and_saveexec_b64 s[4:5], vcc
	s_cbranch_execz .LBB0_18
; %bb.17:
	ds_read_b32 v22, v11
	ds_read2_b32 v[2:3], v10 offset0:40 offset1:80
	ds_read2_b32 v[4:5], v10 offset0:120 offset1:160
	;; [unrolled: 1-line block ×3, first 2 shown]
	s_waitcnt lgkmcnt(3)
	v_lshrrev_b32_e32 v23, 16, v22
	s_waitcnt lgkmcnt(2)
	v_lshrrev_b32_e32 v31, 16, v2
	v_lshrrev_b32_e32 v28, 16, v3
	s_waitcnt lgkmcnt(1)
	v_lshrrev_b32_e32 v33, 16, v4
	;; [unrolled: 3-line block ×3, first 2 shown]
	v_lshrrev_b32_e32 v34, 16, v1
.LBB0_18:
	s_or_b64 exec, exec, s[4:5]
	v_subrev_u32_e32 v14, 40, v13
	v_cndmask_b32_e32 v41, v14, v13, vcc
	v_mul_lo_u32 v13, v19, v41
	v_mov_b32_e32 v36, 2
	v_add_u32_e32 v14, 40, v41
	v_mul_lo_u32 v14, v19, v14
	v_lshlrev_b32_sdwa v24, v36, v13 dst_sel:DWORD dst_unused:UNUSED_PAD src0_sel:DWORD src1_sel:BYTE_0
	v_lshlrev_b32_sdwa v25, v36, v13 dst_sel:DWORD dst_unused:UNUSED_PAD src0_sel:DWORD src1_sel:BYTE_1
	v_lshlrev_b32_sdwa v26, v36, v13 dst_sel:DWORD dst_unused:UNUSED_PAD src0_sel:DWORD src1_sel:BYTE_2
	v_add_u32_e32 v13, 0x50, v41
	v_mul_lo_u32 v27, v19, v13
	v_add_u32_e32 v13, 0x78, v41
	v_lshlrev_b32_sdwa v29, v36, v14 dst_sel:DWORD dst_unused:UNUSED_PAD src0_sel:DWORD src1_sel:BYTE_0
	v_lshlrev_b32_sdwa v30, v36, v14 dst_sel:DWORD dst_unused:UNUSED_PAD src0_sel:DWORD src1_sel:BYTE_1
	v_lshlrev_b32_sdwa v35, v36, v14 dst_sel:DWORD dst_unused:UNUSED_PAD src0_sel:DWORD src1_sel:BYTE_2
	v_lshlrev_b32_sdwa v37, v36, v27 dst_sel:DWORD dst_unused:UNUSED_PAD src0_sel:DWORD src1_sel:BYTE_0
	v_lshlrev_b32_sdwa v38, v36, v27 dst_sel:DWORD dst_unused:UNUSED_PAD src0_sel:DWORD src1_sel:BYTE_1
	v_mul_lo_u32 v39, v19, v13
	global_load_dword v14, v24, s[12:13]
	global_load_dword v15, v25, s[12:13] offset:1024
	global_load_dword v13, v26, s[12:13] offset:2048
	global_load_dword v17, v29, s[12:13]
	global_load_dword v18, v30, s[12:13] offset:1024
	global_load_dword v16, v35, s[12:13] offset:2048
	global_load_dword v20, v37, s[12:13]
	global_load_dword v21, v38, s[12:13] offset:1024
	v_add_u32_e32 v24, 0xa0, v41
	v_mul_lo_u32 v24, v19, v24
	v_add_u32_e32 v25, 0xc8, v41
	v_mul_lo_u32 v42, v19, v25
	v_lshlrev_b32_sdwa v37, v36, v27 dst_sel:DWORD dst_unused:UNUSED_PAD src0_sel:DWORD src1_sel:BYTE_2
	v_lshlrev_b32_sdwa v43, v36, v24 dst_sel:DWORD dst_unused:UNUSED_PAD src0_sel:DWORD src1_sel:BYTE_0
	v_lshlrev_b32_sdwa v44, v36, v24 dst_sel:DWORD dst_unused:UNUSED_PAD src0_sel:DWORD src1_sel:BYTE_1
	v_lshlrev_b32_sdwa v45, v36, v24 dst_sel:DWORD dst_unused:UNUSED_PAD src0_sel:DWORD src1_sel:BYTE_2
	v_add_u32_e32 v24, 0xf0, v41
	v_mul_lo_u32 v47, v19, v24
	v_lshlrev_b32_sdwa v38, v36, v39 dst_sel:DWORD dst_unused:UNUSED_PAD src0_sel:DWORD src1_sel:BYTE_0
	v_lshlrev_b32_sdwa v40, v36, v39 dst_sel:DWORD dst_unused:UNUSED_PAD src0_sel:DWORD src1_sel:BYTE_1
	v_lshlrev_b32_sdwa v39, v36, v39 dst_sel:DWORD dst_unused:UNUSED_PAD src0_sel:DWORD src1_sel:BYTE_2
	v_lshlrev_b32_sdwa v46, v36, v42 dst_sel:DWORD dst_unused:UNUSED_PAD src0_sel:DWORD src1_sel:BYTE_0
	global_load_dword v19, v37, s[12:13] offset:2048
	global_load_dword v25, v38, s[12:13]
	global_load_dword v26, v40, s[12:13] offset:1024
	global_load_dword v24, v39, s[12:13] offset:2048
	global_load_dword v29, v43, s[12:13]
	global_load_dword v30, v44, s[12:13] offset:1024
	global_load_dword v27, v45, s[12:13] offset:2048
	global_load_dword v35, v46, s[12:13]
	v_lshlrev_b32_sdwa v43, v36, v42 dst_sel:DWORD dst_unused:UNUSED_PAD src0_sel:DWORD src1_sel:BYTE_1
	v_lshlrev_b32_sdwa v42, v36, v42 dst_sel:DWORD dst_unused:UNUSED_PAD src0_sel:DWORD src1_sel:BYTE_2
	v_lshlrev_b32_sdwa v44, v36, v47 dst_sel:DWORD dst_unused:UNUSED_PAD src0_sel:DWORD src1_sel:BYTE_0
	v_lshlrev_b32_sdwa v45, v36, v47 dst_sel:DWORD dst_unused:UNUSED_PAD src0_sel:DWORD src1_sel:BYTE_1
	v_lshlrev_b32_sdwa v46, v36, v47 dst_sel:DWORD dst_unused:UNUSED_PAD src0_sel:DWORD src1_sel:BYTE_2
	global_load_dword v37, v43, s[12:13] offset:1024
	global_load_dword v36, v42, s[12:13] offset:2048
	global_load_dword v39, v44, s[12:13]
	global_load_dword v40, v45, s[12:13] offset:1024
	global_load_dword v38, v46, s[12:13] offset:2048
	s_waitcnt vmcnt(0)
	s_barrier
	s_and_saveexec_b64 s[4:5], vcc
	s_cbranch_execz .LBB0_20
; %bb.19:
	v_mul_i32_i24_e32 v41, 6, v41
	v_mov_b32_e32 v42, 0
	v_lshlrev_b64 v[41:42], 2, v[41:42]
	v_mov_b32_e32 v43, s19
	v_add_co_u32_e32 v45, vcc, s18, v41
	v_addc_co_u32_e32 v46, vcc, v43, v42, vcc
	global_load_dwordx4 v[41:44], v[45:46], off offset:128
	global_load_dwordx2 v[47:48], v[45:46], off offset:144
	v_lshrrev_b32_e32 v45, 16, v39
	v_mul_f16_sdwa v46, v39, v40 dst_sel:DWORD dst_unused:UNUSED_PAD src0_sel:DWORD src1_sel:WORD_1
	v_mul_f16_sdwa v49, v45, v40 dst_sel:DWORD dst_unused:UNUSED_PAD src0_sel:DWORD src1_sel:WORD_1
	v_fma_f16 v45, v45, v40, v46
	v_fma_f16 v39, v39, v40, -v49
	v_mul_f16_sdwa v40, v45, v38 dst_sel:DWORD dst_unused:UNUSED_PAD src0_sel:DWORD src1_sel:WORD_1
	v_fma_f16 v40, v38, v39, -v40
	v_mul_f16_sdwa v39, v39, v38 dst_sel:DWORD dst_unused:UNUSED_PAD src0_sel:DWORD src1_sel:WORD_1
	v_fma_f16 v38, v38, v45, v39
	s_mov_b32 s7, 0xb574
	s_movk_i32 s12, 0x2b26
	s_mov_b32 s13, 0xbcab
	s_mov_b32 s6, 0xb70e
	s_waitcnt vmcnt(1)
	v_mul_f16_sdwa v54, v31, v41 dst_sel:DWORD dst_unused:UNUSED_PAD src0_sel:DWORD src1_sel:WORD_1
	s_waitcnt vmcnt(0)
	v_mul_f16_sdwa v50, v34, v48 dst_sel:DWORD dst_unused:UNUSED_PAD src0_sel:DWORD src1_sel:WORD_1
	v_mul_f16_sdwa v51, v12, v47 dst_sel:DWORD dst_unused:UNUSED_PAD src0_sel:DWORD src1_sel:WORD_1
	;; [unrolled: 1-line block ×11, first 2 shown]
	v_fma_f16 v1, v1, v48, v50
	v_fma_f16 v0, v0, v47, v51
	;; [unrolled: 1-line block ×4, first 2 shown]
	v_fma_f16 v34, v34, v48, -v52
	v_fma_f16 v31, v31, v41, -v56
	;; [unrolled: 1-line block ×4, first 2 shown]
	v_fma_f16 v5, v5, v44, v39
	v_fma_f16 v4, v4, v43, v45
	v_fma_f16 v33, v33, v43, -v46
	v_fma_f16 v32, v32, v44, -v49
	v_sub_f16_e32 v39, v2, v1
	v_sub_f16_e32 v42, v3, v0
	v_add_f16_e32 v43, v31, v34
	v_add_f16_e32 v45, v28, v12
	;; [unrolled: 1-line block ×4, first 2 shown]
	v_sub_f16_e32 v41, v5, v4
	v_add_f16_e32 v44, v33, v32
	v_add_f16_e32 v2, v4, v5
	v_sub_f16_e32 v3, v31, v34
	v_sub_f16_e32 v4, v32, v33
	;; [unrolled: 1-line block ×3, first 2 shown]
	v_add_f16_e32 v34, v45, v43
	v_add_f16_e32 v47, v0, v1
	v_sub_f16_e32 v12, v39, v41
	v_sub_f16_e32 v28, v41, v42
	v_add_f16_e32 v31, v41, v42
	v_sub_f16_e32 v32, v43, v44
	v_sub_f16_e32 v41, v1, v2
	;; [unrolled: 1-line block ×4, first 2 shown]
	v_add_f16_e32 v34, v44, v34
	v_add_f16_e32 v2, v2, v47
	v_sub_f16_e32 v33, v44, v45
	v_sub_f16_e32 v48, v3, v4
	v_add_f16_e32 v4, v4, v5
	v_mul_f16_e32 v28, 0x3846, v28
	v_mul_f16_e32 v32, 0x3a52, v32
	;; [unrolled: 1-line block ×4, first 2 shown]
	v_add_f16_e32 v23, v23, v34
	v_add_f16_e32 v22, v22, v2
	;; [unrolled: 1-line block ×4, first 2 shown]
	v_fma_f16 v47, v12, s7, v28
	v_fma_f16 v49, v48, s7, v44
	;; [unrolled: 1-line block ×8, first 2 shown]
	v_add_f16_e32 v50, v50, v34
	v_add_f16_e32 v51, v51, v2
	;; [unrolled: 1-line block ×3, first 2 shown]
	v_sub_f16_e32 v53, v51, v49
	v_mul_f16_e32 v54, v53, v38
	v_mul_f16_e32 v38, v52, v38
	v_fma_f16 v54, v52, v40, -v54
	v_fma_f16 v38, v53, v40, v38
	v_lshrrev_b32_e32 v40, 16, v35
	v_mul_f16_sdwa v52, v40, v37 dst_sel:DWORD dst_unused:UNUSED_PAD src0_sel:DWORD src1_sel:WORD_1
	v_fma_f16 v52, v35, v37, -v52
	v_mul_f16_sdwa v35, v35, v37 dst_sel:DWORD dst_unused:UNUSED_PAD src0_sel:DWORD src1_sel:WORD_1
	v_fma_f16 v35, v40, v37, v35
	v_mul_f16_sdwa v37, v35, v36 dst_sel:DWORD dst_unused:UNUSED_PAD src0_sel:DWORD src1_sel:WORD_1
	v_mul_f16_sdwa v40, v52, v36 dst_sel:DWORD dst_unused:UNUSED_PAD src0_sel:DWORD src1_sel:WORD_1
	v_fma_f16 v37, v36, v52, -v37
	v_fma_f16 v35, v36, v35, v40
	v_sub_f16_e32 v36, v42, v39
	v_sub_f16_e32 v3, v5, v3
	s_movk_i32 s7, 0x3574
	v_mul_f16_e32 v39, 0xbb00, v36
	v_sub_f16_e32 v0, v0, v1
	s_mov_b32 s12, 0xb9e0
	v_mul_f16_e32 v5, 0xbb00, v3
	v_fma_f16 v12, v12, s7, -v39
	v_sub_f16_e32 v39, v45, v43
	v_fma_f16 v5, v48, s7, -v5
	v_fma_f16 v40, v0, s12, -v41
	v_fma_f16 v1, v31, s6, v12
	v_fma_f16 v12, v39, s12, -v32
	v_add_f16_e32 v40, v40, v2
	v_fma_f16 v5, v4, s6, v5
	v_add_f16_e32 v12, v12, v34
	v_sub_f16_e32 v41, v40, v5
	v_add_f16_e32 v32, v1, v12
	v_mul_f16_e32 v42, v41, v35
	v_fma_f16 v42, v32, v37, -v42
	v_mul_f16_e32 v32, v32, v35
	v_lshrrev_b32_e32 v35, 16, v29
	v_mul_f16_e32 v33, 0x2b26, v33
	s_movk_i32 s7, 0x39e0
	v_fma_f16 v32, v41, v37, v32
	v_mul_f16_sdwa v37, v35, v30 dst_sel:DWORD dst_unused:UNUSED_PAD src0_sel:DWORD src1_sel:WORD_1
	v_fma_f16 v33, v39, s7, -v33
	s_mov_b32 s12, 0xbb00
	v_mul_f16_e32 v39, 0x2b26, v46
	v_fma_f16 v37, v29, v30, -v37
	v_mul_f16_sdwa v29, v29, v30 dst_sel:DWORD dst_unused:UNUSED_PAD src0_sel:DWORD src1_sel:WORD_1
	v_fma_f16 v28, v36, s12, -v28
	v_fma_f16 v3, v3, s12, -v44
	;; [unrolled: 1-line block ×3, first 2 shown]
	v_fma_f16 v29, v35, v30, v29
	v_add_f16_e32 v33, v33, v34
	v_fma_f16 v28, v31, s6, v28
	v_fma_f16 v3, v4, s6, v3
	v_add_f16_e32 v0, v0, v2
	v_mul_f16_sdwa v4, v37, v27 dst_sel:DWORD dst_unused:UNUSED_PAD src0_sel:DWORD src1_sel:WORD_1
	v_sub_f16_e32 v31, v33, v28
	v_mul_f16_sdwa v41, v29, v27 dst_sel:DWORD dst_unused:UNUSED_PAD src0_sel:DWORD src1_sel:WORD_1
	v_add_f16_e32 v2, v3, v0
	v_fma_f16 v4, v27, v29, v4
	v_lshrrev_b32_e32 v36, 16, v25
	v_fma_f16 v41, v27, v37, -v41
	v_mul_f16_e32 v27, v2, v4
	v_mul_f16_e32 v4, v31, v4
	v_fma_f16 v2, v2, v41, v4
	v_add_f16_e32 v4, v28, v33
	v_mul_f16_sdwa v28, v36, v26 dst_sel:DWORD dst_unused:UNUSED_PAD src0_sel:DWORD src1_sel:WORD_1
	v_fma_f16 v28, v25, v26, -v28
	v_mul_f16_sdwa v25, v25, v26 dst_sel:DWORD dst_unused:UNUSED_PAD src0_sel:DWORD src1_sel:WORD_1
	v_fma_f16 v25, v36, v26, v25
	v_sub_f16_e32 v0, v0, v3
	v_mul_f16_sdwa v3, v28, v24 dst_sel:DWORD dst_unused:UNUSED_PAD src0_sel:DWORD src1_sel:WORD_1
	v_mul_f16_sdwa v26, v25, v24 dst_sel:DWORD dst_unused:UNUSED_PAD src0_sel:DWORD src1_sel:WORD_1
	v_fma_f16 v3, v24, v25, v3
	v_fma_f16 v26, v24, v28, -v26
	v_mul_f16_e32 v24, v0, v3
	v_lshrrev_b32_e32 v34, 16, v20
	v_fma_f16 v24, v4, v26, -v24
	v_mul_f16_e32 v3, v4, v3
	v_mul_f16_sdwa v4, v20, v21 dst_sel:DWORD dst_unused:UNUSED_PAD src0_sel:DWORD src1_sel:WORD_1
	v_fma_f16 v0, v0, v26, v3
	v_mul_f16_sdwa v3, v34, v21 dst_sel:DWORD dst_unused:UNUSED_PAD src0_sel:DWORD src1_sel:WORD_1
	v_fma_f16 v4, v34, v21, v4
	v_sub_f16_e32 v1, v12, v1
	v_fma_f16 v3, v20, v21, -v3
	v_mul_f16_sdwa v12, v4, v19 dst_sel:DWORD dst_unused:UNUSED_PAD src0_sel:DWORD src1_sel:WORD_1
	v_fma_f16 v12, v19, v3, -v12
	v_mul_f16_sdwa v3, v3, v19 dst_sel:DWORD dst_unused:UNUSED_PAD src0_sel:DWORD src1_sel:WORD_1
	v_add_f16_e32 v5, v5, v40
	v_fma_f16 v3, v19, v4, v3
	v_mul_f16_e32 v4, v5, v3
	v_fma_f16 v4, v1, v12, -v4
	v_mul_f16_e32 v1, v1, v3
	v_lshrrev_b32_e32 v35, 16, v17
	v_fma_f16 v1, v5, v12, v1
	v_mul_f16_sdwa v12, v17, v18 dst_sel:DWORD dst_unused:UNUSED_PAD src0_sel:DWORD src1_sel:WORD_1
	v_mul_f16_sdwa v5, v35, v18 dst_sel:DWORD dst_unused:UNUSED_PAD src0_sel:DWORD src1_sel:WORD_1
	v_fma_f16 v12, v35, v18, v12
	v_fma_f16 v5, v17, v18, -v5
	v_mul_f16_sdwa v17, v12, v16 dst_sel:DWORD dst_unused:UNUSED_PAD src0_sel:DWORD src1_sel:WORD_1
	v_fma_f16 v17, v16, v5, -v17
	v_mul_f16_sdwa v5, v5, v16 dst_sel:DWORD dst_unused:UNUSED_PAD src0_sel:DWORD src1_sel:WORD_1
	v_add_f16_e32 v18, v49, v51
	v_fma_f16 v5, v16, v12, v5
	v_lshrrev_b32_e32 v30, 16, v14
	v_sub_f16_e32 v3, v50, v47
	v_mul_f16_e32 v12, v18, v5
	v_fma_f16 v12, v3, v17, -v12
	v_mul_f16_e32 v3, v3, v5
	v_mul_f16_sdwa v5, v30, v15 dst_sel:DWORD dst_unused:UNUSED_PAD src0_sel:DWORD src1_sel:WORD_1
	v_fma_f16 v5, v14, v15, -v5
	v_mul_f16_sdwa v14, v14, v15 dst_sel:DWORD dst_unused:UNUSED_PAD src0_sel:DWORD src1_sel:WORD_1
	v_fma_f16 v14, v30, v15, v14
	v_mul_f16_sdwa v15, v14, v13 dst_sel:DWORD dst_unused:UNUSED_PAD src0_sel:DWORD src1_sel:WORD_1
	v_fma_f16 v15, v13, v5, -v15
	v_mul_f16_sdwa v5, v5, v13 dst_sel:DWORD dst_unused:UNUSED_PAD src0_sel:DWORD src1_sel:WORD_1
	v_fma_f16 v3, v18, v17, v3
	v_fma_f16 v5, v13, v14, v5
	v_fma_f16 v27, v31, v41, -v27
	v_mul_f16_e32 v13, v22, v5
	v_mul_f16_e32 v5, v23, v5
	v_pack_b32_f16 v3, v3, v12
	v_pack_b32_f16 v1, v1, v4
	v_fma_f16 v13, v23, v15, -v13
	v_fma_f16 v5, v22, v15, v5
	ds_write2_b32 v10, v3, v1 offset0:40 offset1:80
	v_pack_b32_f16 v0, v0, v24
	v_pack_b32_f16 v1, v2, v27
	;; [unrolled: 1-line block ×3, first 2 shown]
	ds_write2_b32 v10, v0, v1 offset0:120 offset1:160
	v_pack_b32_f16 v0, v32, v42
	v_pack_b32_f16 v1, v38, v54
	ds_write_b32 v11, v5
	ds_write2_b32 v10, v0, v1 offset0:200 offset1:240
.LBB0_20:
	s_or_b64 exec, exec, s[4:5]
	s_waitcnt lgkmcnt(0)
	s_barrier
	s_and_saveexec_b64 s[4:5], s[0:1]
	s_cbranch_execz .LBB0_22
; %bb.21:
	v_mad_u64_u32 v[0:1], s[0:1], s10, v8, 0
	v_mad_u64_u32 v[2:3], s[0:1], s8, v6, 0
	;; [unrolled: 1-line block ×3, first 2 shown]
	v_mov_b32_e32 v1, v3
	v_mad_u64_u32 v[10:11], s[0:1], s9, v6, v[1:2]
	v_mov_b32_e32 v1, v4
	s_lshl_b64 s[0:1], s[2:3], 2
	v_mul_u32_u24_e32 v4, 0x460, v8
	s_add_u32 s0, s16, s0
	v_lshlrev_b64 v[0:1], 2, v[0:1]
	v_add3_u32 v9, 0, v4, v9
	s_addc_u32 s1, s17, s1
	v_mov_b32_e32 v3, v10
	ds_read2_b32 v[4:5], v9 offset1:56
	v_mov_b32_e32 v8, s1
	v_add_co_u32_e32 v10, vcc, s0, v0
	v_addc_co_u32_e32 v11, vcc, v8, v1, vcc
	v_lshlrev_b64 v[0:1], 2, v[2:3]
	v_mad_u64_u32 v[2:3], s[0:1], s8, v7, 0
	v_add_co_u32_e32 v0, vcc, v10, v0
	v_addc_co_u32_e32 v1, vcc, v11, v1, vcc
	s_waitcnt lgkmcnt(0)
	global_store_dword v[0:1], v4, off
	v_mov_b32_e32 v0, v3
	v_mad_u64_u32 v[0:1], s[0:1], s9, v7, v[0:1]
	v_add_u32_e32 v4, 0x70, v6
	v_mad_u64_u32 v[7:8], s[0:1], s8, v4, 0
	v_mov_b32_e32 v3, v0
	v_lshlrev_b64 v[0:1], 2, v[2:3]
	v_mov_b32_e32 v2, v8
	v_mad_u64_u32 v[2:3], s[0:1], s9, v4, v[2:3]
	v_add_co_u32_e32 v0, vcc, v10, v0
	v_addc_co_u32_e32 v1, vcc, v11, v1, vcc
	v_mov_b32_e32 v8, v2
	global_store_dword v[0:1], v5, off
	ds_read2_b32 v[0:1], v9 offset0:112 offset1:168
	v_lshlrev_b64 v[2:3], 2, v[7:8]
	v_add_u32_e32 v7, 0xa8, v6
	v_mad_u64_u32 v[4:5], s[0:1], s8, v7, 0
	v_add_co_u32_e32 v2, vcc, v10, v2
	v_addc_co_u32_e32 v3, vcc, v11, v3, vcc
	s_waitcnt lgkmcnt(0)
	global_store_dword v[2:3], v0, off
	v_mov_b32_e32 v0, v5
	v_add_u32_e32 v8, 0xe0, v6
	v_mad_u64_u32 v[2:3], s[0:1], s9, v7, v[0:1]
	v_mad_u64_u32 v[6:7], s[0:1], s8, v8, 0
	v_mov_b32_e32 v5, v2
	v_lshlrev_b64 v[2:3], 2, v[4:5]
	v_mov_b32_e32 v0, v7
	v_mad_u64_u32 v[4:5], s[0:1], s9, v8, v[0:1]
	v_add_co_u32_e32 v2, vcc, v10, v2
	v_addc_co_u32_e32 v3, vcc, v11, v3, vcc
	global_store_dword v[2:3], v1, off
	v_mov_b32_e32 v7, v4
	ds_read_b32 v2, v9 offset:896
	v_lshlrev_b64 v[0:1], 2, v[6:7]
	v_add_co_u32_e32 v0, vcc, v10, v0
	v_addc_co_u32_e32 v1, vcc, v11, v1, vcc
	s_waitcnt lgkmcnt(0)
	global_store_dword v[0:1], v2, off
.LBB0_22:
	s_endpgm
	.section	.rodata,"a",@progbits
	.p2align	6, 0x0
	.amdhsa_kernel fft_rtc_back_len280_factors_8_5_7_wgs_392_tpt_56_half_ip_CI_sbcc_twdbase8_3step
		.amdhsa_group_segment_fixed_size 0
		.amdhsa_private_segment_fixed_size 0
		.amdhsa_kernarg_size 96
		.amdhsa_user_sgpr_count 6
		.amdhsa_user_sgpr_private_segment_buffer 1
		.amdhsa_user_sgpr_dispatch_ptr 0
		.amdhsa_user_sgpr_queue_ptr 0
		.amdhsa_user_sgpr_kernarg_segment_ptr 1
		.amdhsa_user_sgpr_dispatch_id 0
		.amdhsa_user_sgpr_flat_scratch_init 0
		.amdhsa_user_sgpr_private_segment_size 0
		.amdhsa_uses_dynamic_stack 0
		.amdhsa_system_sgpr_private_segment_wavefront_offset 0
		.amdhsa_system_sgpr_workgroup_id_x 1
		.amdhsa_system_sgpr_workgroup_id_y 0
		.amdhsa_system_sgpr_workgroup_id_z 0
		.amdhsa_system_sgpr_workgroup_info 0
		.amdhsa_system_vgpr_workitem_id 0
		.amdhsa_next_free_vgpr 58
		.amdhsa_next_free_sgpr 45
		.amdhsa_reserve_vcc 1
		.amdhsa_reserve_flat_scratch 0
		.amdhsa_float_round_mode_32 0
		.amdhsa_float_round_mode_16_64 0
		.amdhsa_float_denorm_mode_32 3
		.amdhsa_float_denorm_mode_16_64 3
		.amdhsa_dx10_clamp 1
		.amdhsa_ieee_mode 1
		.amdhsa_fp16_overflow 0
		.amdhsa_exception_fp_ieee_invalid_op 0
		.amdhsa_exception_fp_denorm_src 0
		.amdhsa_exception_fp_ieee_div_zero 0
		.amdhsa_exception_fp_ieee_overflow 0
		.amdhsa_exception_fp_ieee_underflow 0
		.amdhsa_exception_fp_ieee_inexact 0
		.amdhsa_exception_int_div_zero 0
	.end_amdhsa_kernel
	.text
.Lfunc_end0:
	.size	fft_rtc_back_len280_factors_8_5_7_wgs_392_tpt_56_half_ip_CI_sbcc_twdbase8_3step, .Lfunc_end0-fft_rtc_back_len280_factors_8_5_7_wgs_392_tpt_56_half_ip_CI_sbcc_twdbase8_3step
                                        ; -- End function
	.section	.AMDGPU.csdata,"",@progbits
; Kernel info:
; codeLenInByte = 5868
; NumSgprs: 49
; NumVgprs: 58
; ScratchSize: 0
; MemoryBound: 0
; FloatMode: 240
; IeeeMode: 1
; LDSByteSize: 0 bytes/workgroup (compile time only)
; SGPRBlocks: 6
; VGPRBlocks: 14
; NumSGPRsForWavesPerEU: 49
; NumVGPRsForWavesPerEU: 58
; Occupancy: 4
; WaveLimiterHint : 1
; COMPUTE_PGM_RSRC2:SCRATCH_EN: 0
; COMPUTE_PGM_RSRC2:USER_SGPR: 6
; COMPUTE_PGM_RSRC2:TRAP_HANDLER: 0
; COMPUTE_PGM_RSRC2:TGID_X_EN: 1
; COMPUTE_PGM_RSRC2:TGID_Y_EN: 0
; COMPUTE_PGM_RSRC2:TGID_Z_EN: 0
; COMPUTE_PGM_RSRC2:TIDIG_COMP_CNT: 0
	.type	__hip_cuid_8d05e127779f9b98,@object ; @__hip_cuid_8d05e127779f9b98
	.section	.bss,"aw",@nobits
	.globl	__hip_cuid_8d05e127779f9b98
__hip_cuid_8d05e127779f9b98:
	.byte	0                               ; 0x0
	.size	__hip_cuid_8d05e127779f9b98, 1

	.ident	"AMD clang version 19.0.0git (https://github.com/RadeonOpenCompute/llvm-project roc-6.4.0 25133 c7fe45cf4b819c5991fe208aaa96edf142730f1d)"
	.section	".note.GNU-stack","",@progbits
	.addrsig
	.addrsig_sym __hip_cuid_8d05e127779f9b98
	.amdgpu_metadata
---
amdhsa.kernels:
  - .args:
      - .actual_access:  read_only
        .address_space:  global
        .offset:         0
        .size:           8
        .value_kind:     global_buffer
      - .address_space:  global
        .offset:         8
        .size:           8
        .value_kind:     global_buffer
      - .offset:         16
        .size:           8
        .value_kind:     by_value
      - .actual_access:  read_only
        .address_space:  global
        .offset:         24
        .size:           8
        .value_kind:     global_buffer
      - .actual_access:  read_only
        .address_space:  global
        .offset:         32
        .size:           8
        .value_kind:     global_buffer
      - .offset:         40
        .size:           8
        .value_kind:     by_value
      - .actual_access:  read_only
        .address_space:  global
        .offset:         48
        .size:           8
        .value_kind:     global_buffer
      - .actual_access:  read_only
        .address_space:  global
        .offset:         56
        .size:           8
        .value_kind:     global_buffer
      - .offset:         64
        .size:           4
        .value_kind:     by_value
      - .actual_access:  read_only
        .address_space:  global
        .offset:         72
        .size:           8
        .value_kind:     global_buffer
      - .actual_access:  read_only
        .address_space:  global
        .offset:         80
        .size:           8
        .value_kind:     global_buffer
      - .address_space:  global
        .offset:         88
        .size:           8
        .value_kind:     global_buffer
    .group_segment_fixed_size: 0
    .kernarg_segment_align: 8
    .kernarg_segment_size: 96
    .language:       OpenCL C
    .language_version:
      - 2
      - 0
    .max_flat_workgroup_size: 392
    .name:           fft_rtc_back_len280_factors_8_5_7_wgs_392_tpt_56_half_ip_CI_sbcc_twdbase8_3step
    .private_segment_fixed_size: 0
    .sgpr_count:     49
    .sgpr_spill_count: 0
    .symbol:         fft_rtc_back_len280_factors_8_5_7_wgs_392_tpt_56_half_ip_CI_sbcc_twdbase8_3step.kd
    .uniform_work_group_size: 1
    .uses_dynamic_stack: false
    .vgpr_count:     58
    .vgpr_spill_count: 0
    .wavefront_size: 64
amdhsa.target:   amdgcn-amd-amdhsa--gfx906
amdhsa.version:
  - 1
  - 2
...

	.end_amdgpu_metadata
